;; amdgpu-corpus repo=ROCm/rocSPARSE kind=compiled arch=gfx1250 opt=O3
	.amdgcn_target "amdgcn-amd-amdhsa--gfx1250"
	.amdhsa_code_object_version 6
	.section	.text._ZN9rocsparseL18bsrxmv_scale_arrayILj256EifEEvT0_S1_S1_PKS1_PT1_PKS4_21rocsparse_index_base_,"axG",@progbits,_ZN9rocsparseL18bsrxmv_scale_arrayILj256EifEEvT0_S1_S1_PKS1_PT1_PKS4_21rocsparse_index_base_,comdat
	.globl	_ZN9rocsparseL18bsrxmv_scale_arrayILj256EifEEvT0_S1_S1_PKS1_PT1_PKS4_21rocsparse_index_base_ ; -- Begin function _ZN9rocsparseL18bsrxmv_scale_arrayILj256EifEEvT0_S1_S1_PKS1_PT1_PKS4_21rocsparse_index_base_
	.p2align	8
	.type	_ZN9rocsparseL18bsrxmv_scale_arrayILj256EifEEvT0_S1_S1_PKS1_PT1_PKS4_21rocsparse_index_base_,@function
_ZN9rocsparseL18bsrxmv_scale_arrayILj256EifEEvT0_S1_S1_PKS1_PT1_PKS4_21rocsparse_index_base_: ; @_ZN9rocsparseL18bsrxmv_scale_arrayILj256EifEEvT0_S1_S1_PKS1_PT1_PKS4_21rocsparse_index_base_
; %bb.0:
	s_load_b64 s[2:3], s[0:1], 0x20
	s_wait_kmcnt 0x0
	s_load_b32 s7, s[2:3], 0x0
	s_wait_kmcnt 0x0
	s_cmp_eq_f32 s7, 1.0
	s_cbranch_scc1 .LBB0_9
; %bb.1:
	s_clause 0x1
	s_load_b64 s[2:3], s[0:1], 0x10
	s_load_b96 s[4:6], s[0:1], 0x0
	s_bfe_u32 s8, ttmp6, 0x4000c
	s_and_b32 s9, ttmp6, 15
	s_add_co_i32 s8, s8, 1
	s_getreg_b32 s10, hwreg(HW_REG_IB_STS2, 6, 4)
	s_mul_i32 s8, ttmp9, s8
	s_delay_alu instid0(SALU_CYCLE_1) | instskip(SKIP_2) | instid1(SALU_CYCLE_1)
	s_add_co_i32 s9, s9, s8
	s_cmp_eq_u32 s10, 0
	s_cselect_b32 s8, ttmp9, s9
	v_lshl_or_b32 v0, s8, 8, v0
	s_mov_b32 s8, 0
	s_wait_kmcnt 0x0
	s_cmp_lg_u64 s[2:3], 0
	s_cbranch_scc0 .LBB0_6
; %bb.2:
	s_mul_i32 s5, s6, s5
                                        ; implicit-def: $vgpr1
	s_delay_alu instid0(SALU_CYCLE_1) | instskip(SKIP_2) | instid1(SALU_CYCLE_1)
	v_cmp_gt_i32_e32 vcc_lo, s5, v0
	s_mov_b32 s5, 0
	s_and_saveexec_b32 s9, vcc_lo
	s_xor_b32 s9, exec_lo, s9
	s_cbranch_execz .LBB0_4
; %bb.3:
	s_abs_i32 s10, s6
	s_mov_b32 s8, exec_lo
	s_cvt_f32_u32 s11, s10
	s_sub_co_i32 s12, 0, s10
	s_delay_alu instid0(SALU_CYCLE_2) | instskip(SKIP_1) | instid1(TRANS32_DEP_1)
	v_rcp_iflag_f32_e32 v1, s11
	v_nop
	v_readfirstlane_b32 s11, v1
	v_sub_nc_u32_e32 v1, 0, v0
	s_mul_f32 s11, s11, 0x4f7ffffe
	s_delay_alu instid0(VALU_DEP_1) | instskip(NEXT) | instid1(SALU_CYCLE_2)
	v_max_i32_e32 v1, v0, v1
	s_cvt_u32_f32 s11, s11
	s_delay_alu instid0(SALU_CYCLE_3) | instskip(NEXT) | instid1(SALU_CYCLE_1)
	s_mul_i32 s12, s12, s11
	s_mul_hi_u32 s12, s11, s12
	s_delay_alu instid0(SALU_CYCLE_1) | instskip(NEXT) | instid1(SALU_CYCLE_1)
	s_add_co_i32 s11, s11, s12
	v_mul_hi_u32 v2, v1, s11
	s_delay_alu instid0(VALU_DEP_1) | instskip(NEXT) | instid1(VALU_DEP_1)
	v_mul_lo_u32 v3, v2, s10
	v_dual_sub_nc_u32 v1, v1, v3 :: v_dual_add_nc_u32 v3, 1, v2
	s_delay_alu instid0(VALU_DEP_1) | instskip(NEXT) | instid1(VALU_DEP_2)
	v_cmp_le_u32_e32 vcc_lo, s10, v1
	v_dual_cndmask_b32 v2, v2, v3, vcc_lo :: v_dual_bitop2_b32 v3, s6, v0 bitop3:0x14
	v_subrev_nc_u32_e32 v4, s10, v1
	s_delay_alu instid0(VALU_DEP_1) | instskip(NEXT) | instid1(VALU_DEP_1)
	v_dual_cndmask_b32 v1, v1, v4 :: v_dual_add_nc_u32 v4, 1, v2
	v_cmp_le_u32_e32 vcc_lo, s10, v1
	s_delay_alu instid0(VALU_DEP_2) | instskip(NEXT) | instid1(VALU_DEP_1)
	v_dual_ashrrev_i32 v3, 31, v3 :: v_dual_cndmask_b32 v1, v2, v4, vcc_lo
	v_xor_b32_e32 v1, v1, v3
	s_delay_alu instid0(VALU_DEP_1) | instskip(SKIP_4) | instid1(VALU_DEP_1)
	v_sub_nc_u32_e32 v1, v1, v3
	global_load_b32 v2, v1, s[2:3] scale_offset
	s_wait_xcnt 0x0
	s_load_b32 s2, s[0:1], 0x28
	v_mul_lo_u32 v1, v1, s6
	v_sub_nc_u32_e32 v1, v0, v1
	s_wait_loadcnt 0x0
	s_wait_kmcnt 0x0
	v_subrev_nc_u32_e32 v2, s2, v2
	s_delay_alu instid0(VALU_DEP_1)
	v_mad_u32 v1, v2, s6, v1
.LBB0_4:
	s_or_b32 exec_lo, exec_lo, s9
	s_delay_alu instid0(SALU_CYCLE_1)
	s_and_b32 vcc_lo, exec_lo, s5
	s_cbranch_vccz .LBB0_7
.LBB0_5:
	s_mul_i32 s2, s6, s4
	s_delay_alu instid0(SALU_CYCLE_1) | instskip(SKIP_2) | instid1(SALU_CYCLE_1)
	v_cmp_gt_i32_e32 vcc_lo, s2, v0
	s_and_not1_b32 s2, s8, exec_lo
	s_and_b32 s3, vcc_lo, exec_lo
	s_or_b32 s8, s2, s3
	s_delay_alu instid0(SALU_CYCLE_1)
	s_and_saveexec_b32 s2, s8
	s_cbranch_execnz .LBB0_8
	s_branch .LBB0_9
.LBB0_6:
                                        ; implicit-def: $vgpr1
	s_cbranch_execnz .LBB0_5
.LBB0_7:
	s_delay_alu instid0(VALU_DEP_1)
	v_mov_b32_e32 v0, v1
	s_and_saveexec_b32 s2, s8
	s_cbranch_execz .LBB0_9
.LBB0_8:
	s_load_b64 s[0:1], s[0:1], 0x18
	s_wait_kmcnt 0x0
	global_load_b32 v1, v0, s[0:1] scale_offset
	s_wait_loadcnt 0x0
	v_mul_f32_e32 v1, s7, v1
	global_store_b32 v0, v1, s[0:1] scale_offset
.LBB0_9:
	s_endpgm
	.section	.rodata,"a",@progbits
	.p2align	6, 0x0
	.amdhsa_kernel _ZN9rocsparseL18bsrxmv_scale_arrayILj256EifEEvT0_S1_S1_PKS1_PT1_PKS4_21rocsparse_index_base_
		.amdhsa_group_segment_fixed_size 0
		.amdhsa_private_segment_fixed_size 0
		.amdhsa_kernarg_size 44
		.amdhsa_user_sgpr_count 2
		.amdhsa_user_sgpr_dispatch_ptr 0
		.amdhsa_user_sgpr_queue_ptr 0
		.amdhsa_user_sgpr_kernarg_segment_ptr 1
		.amdhsa_user_sgpr_dispatch_id 0
		.amdhsa_user_sgpr_kernarg_preload_length 0
		.amdhsa_user_sgpr_kernarg_preload_offset 0
		.amdhsa_user_sgpr_private_segment_size 0
		.amdhsa_wavefront_size32 1
		.amdhsa_uses_dynamic_stack 0
		.amdhsa_enable_private_segment 0
		.amdhsa_system_sgpr_workgroup_id_x 1
		.amdhsa_system_sgpr_workgroup_id_y 0
		.amdhsa_system_sgpr_workgroup_id_z 0
		.amdhsa_system_sgpr_workgroup_info 0
		.amdhsa_system_vgpr_workitem_id 0
		.amdhsa_next_free_vgpr 5
		.amdhsa_next_free_sgpr 13
		.amdhsa_named_barrier_count 0
		.amdhsa_reserve_vcc 1
		.amdhsa_float_round_mode_32 0
		.amdhsa_float_round_mode_16_64 0
		.amdhsa_float_denorm_mode_32 3
		.amdhsa_float_denorm_mode_16_64 3
		.amdhsa_fp16_overflow 0
		.amdhsa_memory_ordered 1
		.amdhsa_forward_progress 1
		.amdhsa_inst_pref_size 4
		.amdhsa_round_robin_scheduling 0
		.amdhsa_exception_fp_ieee_invalid_op 0
		.amdhsa_exception_fp_denorm_src 0
		.amdhsa_exception_fp_ieee_div_zero 0
		.amdhsa_exception_fp_ieee_overflow 0
		.amdhsa_exception_fp_ieee_underflow 0
		.amdhsa_exception_fp_ieee_inexact 0
		.amdhsa_exception_int_div_zero 0
	.end_amdhsa_kernel
	.section	.text._ZN9rocsparseL18bsrxmv_scale_arrayILj256EifEEvT0_S1_S1_PKS1_PT1_PKS4_21rocsparse_index_base_,"axG",@progbits,_ZN9rocsparseL18bsrxmv_scale_arrayILj256EifEEvT0_S1_S1_PKS1_PT1_PKS4_21rocsparse_index_base_,comdat
.Lfunc_end0:
	.size	_ZN9rocsparseL18bsrxmv_scale_arrayILj256EifEEvT0_S1_S1_PKS1_PT1_PKS4_21rocsparse_index_base_, .Lfunc_end0-_ZN9rocsparseL18bsrxmv_scale_arrayILj256EifEEvT0_S1_S1_PKS1_PT1_PKS4_21rocsparse_index_base_
                                        ; -- End function
	.set _ZN9rocsparseL18bsrxmv_scale_arrayILj256EifEEvT0_S1_S1_PKS1_PT1_PKS4_21rocsparse_index_base_.num_vgpr, 5
	.set _ZN9rocsparseL18bsrxmv_scale_arrayILj256EifEEvT0_S1_S1_PKS1_PT1_PKS4_21rocsparse_index_base_.num_agpr, 0
	.set _ZN9rocsparseL18bsrxmv_scale_arrayILj256EifEEvT0_S1_S1_PKS1_PT1_PKS4_21rocsparse_index_base_.numbered_sgpr, 13
	.set _ZN9rocsparseL18bsrxmv_scale_arrayILj256EifEEvT0_S1_S1_PKS1_PT1_PKS4_21rocsparse_index_base_.num_named_barrier, 0
	.set _ZN9rocsparseL18bsrxmv_scale_arrayILj256EifEEvT0_S1_S1_PKS1_PT1_PKS4_21rocsparse_index_base_.private_seg_size, 0
	.set _ZN9rocsparseL18bsrxmv_scale_arrayILj256EifEEvT0_S1_S1_PKS1_PT1_PKS4_21rocsparse_index_base_.uses_vcc, 1
	.set _ZN9rocsparseL18bsrxmv_scale_arrayILj256EifEEvT0_S1_S1_PKS1_PT1_PKS4_21rocsparse_index_base_.uses_flat_scratch, 0
	.set _ZN9rocsparseL18bsrxmv_scale_arrayILj256EifEEvT0_S1_S1_PKS1_PT1_PKS4_21rocsparse_index_base_.has_dyn_sized_stack, 0
	.set _ZN9rocsparseL18bsrxmv_scale_arrayILj256EifEEvT0_S1_S1_PKS1_PT1_PKS4_21rocsparse_index_base_.has_recursion, 0
	.set _ZN9rocsparseL18bsrxmv_scale_arrayILj256EifEEvT0_S1_S1_PKS1_PT1_PKS4_21rocsparse_index_base_.has_indirect_call, 0
	.section	.AMDGPU.csdata,"",@progbits
; Kernel info:
; codeLenInByte = 504
; TotalNumSgprs: 15
; NumVgprs: 5
; ScratchSize: 0
; MemoryBound: 0
; FloatMode: 240
; IeeeMode: 1
; LDSByteSize: 0 bytes/workgroup (compile time only)
; SGPRBlocks: 0
; VGPRBlocks: 0
; NumSGPRsForWavesPerEU: 15
; NumVGPRsForWavesPerEU: 5
; NamedBarCnt: 0
; Occupancy: 16
; WaveLimiterHint : 0
; COMPUTE_PGM_RSRC2:SCRATCH_EN: 0
; COMPUTE_PGM_RSRC2:USER_SGPR: 2
; COMPUTE_PGM_RSRC2:TRAP_HANDLER: 0
; COMPUTE_PGM_RSRC2:TGID_X_EN: 1
; COMPUTE_PGM_RSRC2:TGID_Y_EN: 0
; COMPUTE_PGM_RSRC2:TGID_Z_EN: 0
; COMPUTE_PGM_RSRC2:TIDIG_COMP_CNT: 0
	.section	.text._ZN9rocsparseL18bsrxmv_scale_arrayILj256EidEEvT0_S1_S1_PKS1_PT1_PKS4_21rocsparse_index_base_,"axG",@progbits,_ZN9rocsparseL18bsrxmv_scale_arrayILj256EidEEvT0_S1_S1_PKS1_PT1_PKS4_21rocsparse_index_base_,comdat
	.globl	_ZN9rocsparseL18bsrxmv_scale_arrayILj256EidEEvT0_S1_S1_PKS1_PT1_PKS4_21rocsparse_index_base_ ; -- Begin function _ZN9rocsparseL18bsrxmv_scale_arrayILj256EidEEvT0_S1_S1_PKS1_PT1_PKS4_21rocsparse_index_base_
	.p2align	8
	.type	_ZN9rocsparseL18bsrxmv_scale_arrayILj256EidEEvT0_S1_S1_PKS1_PT1_PKS4_21rocsparse_index_base_,@function
_ZN9rocsparseL18bsrxmv_scale_arrayILj256EidEEvT0_S1_S1_PKS1_PT1_PKS4_21rocsparse_index_base_: ; @_ZN9rocsparseL18bsrxmv_scale_arrayILj256EidEEvT0_S1_S1_PKS1_PT1_PKS4_21rocsparse_index_base_
; %bb.0:
	s_load_b64 s[2:3], s[0:1], 0x20
	s_wait_kmcnt 0x0
	s_load_b64 s[2:3], s[2:3], 0x0
	s_wait_kmcnt 0x0
	v_cmp_eq_f64_e64 s4, s[2:3], 1.0
	s_and_b32 vcc_lo, exec_lo, s4
	s_cbranch_vccnz .LBB1_9
; %bb.1:
	s_clause 0x1
	s_load_b64 s[8:9], s[0:1], 0x10
	s_load_b96 s[4:6], s[0:1], 0x0
	s_bfe_u32 s7, ttmp6, 0x4000c
	s_and_b32 s10, ttmp6, 15
	s_add_co_i32 s7, s7, 1
	s_getreg_b32 s11, hwreg(HW_REG_IB_STS2, 6, 4)
	s_mul_i32 s7, ttmp9, s7
	s_delay_alu instid0(SALU_CYCLE_1) | instskip(SKIP_2) | instid1(SALU_CYCLE_1)
	s_add_co_i32 s10, s10, s7
	s_cmp_eq_u32 s11, 0
	s_cselect_b32 s7, ttmp9, s10
	v_lshl_or_b32 v0, s7, 8, v0
	s_mov_b32 s7, 0
	s_wait_kmcnt 0x0
	s_cmp_lg_u64 s[8:9], 0
	s_cbranch_scc0 .LBB1_6
; %bb.2:
	s_mul_i32 s5, s6, s5
                                        ; implicit-def: $vgpr1
	s_delay_alu instid0(SALU_CYCLE_1) | instskip(SKIP_2) | instid1(SALU_CYCLE_1)
	v_cmp_gt_i32_e32 vcc_lo, s5, v0
	s_mov_b32 s5, 0
	s_and_saveexec_b32 s10, vcc_lo
	s_xor_b32 s10, exec_lo, s10
	s_cbranch_execz .LBB1_4
; %bb.3:
	s_abs_i32 s11, s6
	s_mov_b32 s7, exec_lo
	s_cvt_f32_u32 s12, s11
	s_sub_co_i32 s13, 0, s11
	s_delay_alu instid0(SALU_CYCLE_2) | instskip(SKIP_1) | instid1(TRANS32_DEP_1)
	v_rcp_iflag_f32_e32 v1, s12
	v_nop
	v_readfirstlane_b32 s12, v1
	v_sub_nc_u32_e32 v1, 0, v0
	s_mul_f32 s12, s12, 0x4f7ffffe
	s_delay_alu instid0(VALU_DEP_1) | instskip(NEXT) | instid1(SALU_CYCLE_2)
	v_max_i32_e32 v1, v0, v1
	s_cvt_u32_f32 s12, s12
	s_delay_alu instid0(SALU_CYCLE_3) | instskip(NEXT) | instid1(SALU_CYCLE_1)
	s_mul_i32 s13, s13, s12
	s_mul_hi_u32 s13, s12, s13
	s_delay_alu instid0(SALU_CYCLE_1) | instskip(NEXT) | instid1(SALU_CYCLE_1)
	s_add_co_i32 s12, s12, s13
	v_mul_hi_u32 v2, v1, s12
	s_delay_alu instid0(VALU_DEP_1) | instskip(NEXT) | instid1(VALU_DEP_1)
	v_mul_lo_u32 v3, v2, s11
	v_dual_sub_nc_u32 v1, v1, v3 :: v_dual_add_nc_u32 v3, 1, v2
	s_delay_alu instid0(VALU_DEP_1) | instskip(NEXT) | instid1(VALU_DEP_2)
	v_cmp_le_u32_e32 vcc_lo, s11, v1
	v_dual_cndmask_b32 v2, v2, v3, vcc_lo :: v_dual_bitop2_b32 v3, s6, v0 bitop3:0x14
	v_subrev_nc_u32_e32 v4, s11, v1
	s_delay_alu instid0(VALU_DEP_1) | instskip(NEXT) | instid1(VALU_DEP_1)
	v_dual_cndmask_b32 v1, v1, v4 :: v_dual_add_nc_u32 v4, 1, v2
	v_cmp_le_u32_e32 vcc_lo, s11, v1
	s_delay_alu instid0(VALU_DEP_2) | instskip(NEXT) | instid1(VALU_DEP_1)
	v_dual_ashrrev_i32 v3, 31, v3 :: v_dual_cndmask_b32 v1, v2, v4, vcc_lo
	v_xor_b32_e32 v1, v1, v3
	s_delay_alu instid0(VALU_DEP_1) | instskip(SKIP_4) | instid1(VALU_DEP_1)
	v_sub_nc_u32_e32 v1, v1, v3
	global_load_b32 v2, v1, s[8:9] scale_offset
	s_wait_xcnt 0x0
	s_load_b32 s8, s[0:1], 0x28
	v_mul_lo_u32 v1, v1, s6
	v_sub_nc_u32_e32 v1, v0, v1
	s_wait_loadcnt 0x0
	s_wait_kmcnt 0x0
	v_subrev_nc_u32_e32 v2, s8, v2
	s_delay_alu instid0(VALU_DEP_1)
	v_mad_u32 v1, v2, s6, v1
.LBB1_4:
	s_or_b32 exec_lo, exec_lo, s10
	s_delay_alu instid0(SALU_CYCLE_1)
	s_and_b32 vcc_lo, exec_lo, s5
	s_cbranch_vccz .LBB1_7
.LBB1_5:
	s_mul_i32 s4, s6, s4
	s_delay_alu instid0(SALU_CYCLE_1) | instskip(SKIP_2) | instid1(SALU_CYCLE_1)
	v_cmp_gt_i32_e32 vcc_lo, s4, v0
	s_and_not1_b32 s4, s7, exec_lo
	s_and_b32 s5, vcc_lo, exec_lo
	s_or_b32 s7, s4, s5
	s_delay_alu instid0(SALU_CYCLE_1)
	s_and_saveexec_b32 s4, s7
	s_cbranch_execnz .LBB1_8
	s_branch .LBB1_9
.LBB1_6:
                                        ; implicit-def: $vgpr1
	s_cbranch_execnz .LBB1_5
.LBB1_7:
	s_delay_alu instid0(VALU_DEP_1)
	v_mov_b32_e32 v0, v1
	s_and_saveexec_b32 s4, s7
	s_cbranch_execz .LBB1_9
.LBB1_8:
	s_load_b64 s[0:1], s[0:1], 0x18
	s_wait_kmcnt 0x0
	global_load_b64 v[2:3], v0, s[0:1] scale_offset
	s_wait_loadcnt 0x0
	v_mul_f64_e32 v[2:3], s[2:3], v[2:3]
	global_store_b64 v0, v[2:3], s[0:1] scale_offset
.LBB1_9:
	s_endpgm
	.section	.rodata,"a",@progbits
	.p2align	6, 0x0
	.amdhsa_kernel _ZN9rocsparseL18bsrxmv_scale_arrayILj256EidEEvT0_S1_S1_PKS1_PT1_PKS4_21rocsparse_index_base_
		.amdhsa_group_segment_fixed_size 0
		.amdhsa_private_segment_fixed_size 0
		.amdhsa_kernarg_size 44
		.amdhsa_user_sgpr_count 2
		.amdhsa_user_sgpr_dispatch_ptr 0
		.amdhsa_user_sgpr_queue_ptr 0
		.amdhsa_user_sgpr_kernarg_segment_ptr 1
		.amdhsa_user_sgpr_dispatch_id 0
		.amdhsa_user_sgpr_kernarg_preload_length 0
		.amdhsa_user_sgpr_kernarg_preload_offset 0
		.amdhsa_user_sgpr_private_segment_size 0
		.amdhsa_wavefront_size32 1
		.amdhsa_uses_dynamic_stack 0
		.amdhsa_enable_private_segment 0
		.amdhsa_system_sgpr_workgroup_id_x 1
		.amdhsa_system_sgpr_workgroup_id_y 0
		.amdhsa_system_sgpr_workgroup_id_z 0
		.amdhsa_system_sgpr_workgroup_info 0
		.amdhsa_system_vgpr_workitem_id 0
		.amdhsa_next_free_vgpr 5
		.amdhsa_next_free_sgpr 14
		.amdhsa_named_barrier_count 0
		.amdhsa_reserve_vcc 1
		.amdhsa_float_round_mode_32 0
		.amdhsa_float_round_mode_16_64 0
		.amdhsa_float_denorm_mode_32 3
		.amdhsa_float_denorm_mode_16_64 3
		.amdhsa_fp16_overflow 0
		.amdhsa_memory_ordered 1
		.amdhsa_forward_progress 1
		.amdhsa_inst_pref_size 4
		.amdhsa_round_robin_scheduling 0
		.amdhsa_exception_fp_ieee_invalid_op 0
		.amdhsa_exception_fp_denorm_src 0
		.amdhsa_exception_fp_ieee_div_zero 0
		.amdhsa_exception_fp_ieee_overflow 0
		.amdhsa_exception_fp_ieee_underflow 0
		.amdhsa_exception_fp_ieee_inexact 0
		.amdhsa_exception_int_div_zero 0
	.end_amdhsa_kernel
	.section	.text._ZN9rocsparseL18bsrxmv_scale_arrayILj256EidEEvT0_S1_S1_PKS1_PT1_PKS4_21rocsparse_index_base_,"axG",@progbits,_ZN9rocsparseL18bsrxmv_scale_arrayILj256EidEEvT0_S1_S1_PKS1_PT1_PKS4_21rocsparse_index_base_,comdat
.Lfunc_end1:
	.size	_ZN9rocsparseL18bsrxmv_scale_arrayILj256EidEEvT0_S1_S1_PKS1_PT1_PKS4_21rocsparse_index_base_, .Lfunc_end1-_ZN9rocsparseL18bsrxmv_scale_arrayILj256EidEEvT0_S1_S1_PKS1_PT1_PKS4_21rocsparse_index_base_
                                        ; -- End function
	.set _ZN9rocsparseL18bsrxmv_scale_arrayILj256EidEEvT0_S1_S1_PKS1_PT1_PKS4_21rocsparse_index_base_.num_vgpr, 5
	.set _ZN9rocsparseL18bsrxmv_scale_arrayILj256EidEEvT0_S1_S1_PKS1_PT1_PKS4_21rocsparse_index_base_.num_agpr, 0
	.set _ZN9rocsparseL18bsrxmv_scale_arrayILj256EidEEvT0_S1_S1_PKS1_PT1_PKS4_21rocsparse_index_base_.numbered_sgpr, 14
	.set _ZN9rocsparseL18bsrxmv_scale_arrayILj256EidEEvT0_S1_S1_PKS1_PT1_PKS4_21rocsparse_index_base_.num_named_barrier, 0
	.set _ZN9rocsparseL18bsrxmv_scale_arrayILj256EidEEvT0_S1_S1_PKS1_PT1_PKS4_21rocsparse_index_base_.private_seg_size, 0
	.set _ZN9rocsparseL18bsrxmv_scale_arrayILj256EidEEvT0_S1_S1_PKS1_PT1_PKS4_21rocsparse_index_base_.uses_vcc, 1
	.set _ZN9rocsparseL18bsrxmv_scale_arrayILj256EidEEvT0_S1_S1_PKS1_PT1_PKS4_21rocsparse_index_base_.uses_flat_scratch, 0
	.set _ZN9rocsparseL18bsrxmv_scale_arrayILj256EidEEvT0_S1_S1_PKS1_PT1_PKS4_21rocsparse_index_base_.has_dyn_sized_stack, 0
	.set _ZN9rocsparseL18bsrxmv_scale_arrayILj256EidEEvT0_S1_S1_PKS1_PT1_PKS4_21rocsparse_index_base_.has_recursion, 0
	.set _ZN9rocsparseL18bsrxmv_scale_arrayILj256EidEEvT0_S1_S1_PKS1_PT1_PKS4_21rocsparse_index_base_.has_indirect_call, 0
	.section	.AMDGPU.csdata,"",@progbits
; Kernel info:
; codeLenInByte = 512
; TotalNumSgprs: 16
; NumVgprs: 5
; ScratchSize: 0
; MemoryBound: 0
; FloatMode: 240
; IeeeMode: 1
; LDSByteSize: 0 bytes/workgroup (compile time only)
; SGPRBlocks: 0
; VGPRBlocks: 0
; NumSGPRsForWavesPerEU: 16
; NumVGPRsForWavesPerEU: 5
; NamedBarCnt: 0
; Occupancy: 16
; WaveLimiterHint : 0
; COMPUTE_PGM_RSRC2:SCRATCH_EN: 0
; COMPUTE_PGM_RSRC2:USER_SGPR: 2
; COMPUTE_PGM_RSRC2:TRAP_HANDLER: 0
; COMPUTE_PGM_RSRC2:TGID_X_EN: 1
; COMPUTE_PGM_RSRC2:TGID_Y_EN: 0
; COMPUTE_PGM_RSRC2:TGID_Z_EN: 0
; COMPUTE_PGM_RSRC2:TIDIG_COMP_CNT: 0
	.section	.text._ZN9rocsparseL18bsrxmv_scale_arrayILj256Ei21rocsparse_complex_numIfEEEvT0_S3_S3_PKS3_PT1_PKS6_21rocsparse_index_base_,"axG",@progbits,_ZN9rocsparseL18bsrxmv_scale_arrayILj256Ei21rocsparse_complex_numIfEEEvT0_S3_S3_PKS3_PT1_PKS6_21rocsparse_index_base_,comdat
	.globl	_ZN9rocsparseL18bsrxmv_scale_arrayILj256Ei21rocsparse_complex_numIfEEEvT0_S3_S3_PKS3_PT1_PKS6_21rocsparse_index_base_ ; -- Begin function _ZN9rocsparseL18bsrxmv_scale_arrayILj256Ei21rocsparse_complex_numIfEEEvT0_S3_S3_PKS3_PT1_PKS6_21rocsparse_index_base_
	.p2align	8
	.type	_ZN9rocsparseL18bsrxmv_scale_arrayILj256Ei21rocsparse_complex_numIfEEEvT0_S3_S3_PKS3_PT1_PKS6_21rocsparse_index_base_,@function
_ZN9rocsparseL18bsrxmv_scale_arrayILj256Ei21rocsparse_complex_numIfEEEvT0_S3_S3_PKS3_PT1_PKS6_21rocsparse_index_base_: ; @_ZN9rocsparseL18bsrxmv_scale_arrayILj256Ei21rocsparse_complex_numIfEEEvT0_S3_S3_PKS3_PT1_PKS6_21rocsparse_index_base_
; %bb.0:
	s_load_b64 s[4:5], s[0:1], 0x20
	s_mov_b32 s7, 0
	s_wait_kmcnt 0x0
	s_load_b64 s[2:3], s[4:5], 0x0
	s_wait_kmcnt 0x0
	s_cmp_neq_f32 s2, 1.0
	s_cselect_b32 s4, -1, 0
	s_cmp_neq_f32 s3, 0
	s_cselect_b32 s5, -1, 0
	s_delay_alu instid0(SALU_CYCLE_1) | instskip(NEXT) | instid1(SALU_CYCLE_1)
	s_or_b32 s4, s4, s5
	s_and_not1_b32 vcc_lo, exec_lo, s4
	s_cbranch_vccnz .LBB2_9
; %bb.1:
	s_clause 0x1
	s_load_b64 s[8:9], s[0:1], 0x10
	s_load_b96 s[4:6], s[0:1], 0x0
	s_bfe_u32 s10, ttmp6, 0x4000c
	s_and_b32 s11, ttmp6, 15
	s_add_co_i32 s10, s10, 1
	s_getreg_b32 s12, hwreg(HW_REG_IB_STS2, 6, 4)
	s_mul_i32 s10, ttmp9, s10
	s_delay_alu instid0(SALU_CYCLE_1) | instskip(SKIP_2) | instid1(SALU_CYCLE_1)
	s_add_co_i32 s11, s11, s10
	s_cmp_eq_u32 s12, 0
	s_cselect_b32 s10, ttmp9, s11
	v_lshl_or_b32 v0, s10, 8, v0
	s_wait_kmcnt 0x0
	s_cmp_lg_u64 s[8:9], 0
	s_cbranch_scc0 .LBB2_6
; %bb.2:
	s_mul_i32 s5, s6, s5
                                        ; implicit-def: $vgpr1
	s_delay_alu instid0(SALU_CYCLE_1) | instskip(SKIP_2) | instid1(SALU_CYCLE_1)
	v_cmp_gt_i32_e32 vcc_lo, s5, v0
	s_mov_b32 s5, 0
	s_and_saveexec_b32 s10, vcc_lo
	s_xor_b32 s10, exec_lo, s10
	s_cbranch_execz .LBB2_4
; %bb.3:
	s_abs_i32 s11, s6
	s_mov_b32 s7, exec_lo
	s_cvt_f32_u32 s12, s11
	s_sub_co_i32 s13, 0, s11
	s_delay_alu instid0(SALU_CYCLE_2) | instskip(SKIP_1) | instid1(TRANS32_DEP_1)
	v_rcp_iflag_f32_e32 v1, s12
	v_nop
	v_readfirstlane_b32 s12, v1
	v_sub_nc_u32_e32 v1, 0, v0
	s_mul_f32 s12, s12, 0x4f7ffffe
	s_delay_alu instid0(VALU_DEP_1) | instskip(NEXT) | instid1(SALU_CYCLE_2)
	v_max_i32_e32 v1, v0, v1
	s_cvt_u32_f32 s12, s12
	s_delay_alu instid0(SALU_CYCLE_3) | instskip(NEXT) | instid1(SALU_CYCLE_1)
	s_mul_i32 s13, s13, s12
	s_mul_hi_u32 s13, s12, s13
	s_delay_alu instid0(SALU_CYCLE_1) | instskip(NEXT) | instid1(SALU_CYCLE_1)
	s_add_co_i32 s12, s12, s13
	v_mul_hi_u32 v2, v1, s12
	s_delay_alu instid0(VALU_DEP_1) | instskip(NEXT) | instid1(VALU_DEP_1)
	v_mul_lo_u32 v3, v2, s11
	v_dual_sub_nc_u32 v1, v1, v3 :: v_dual_add_nc_u32 v3, 1, v2
	s_delay_alu instid0(VALU_DEP_1) | instskip(NEXT) | instid1(VALU_DEP_2)
	v_cmp_le_u32_e32 vcc_lo, s11, v1
	v_dual_cndmask_b32 v2, v2, v3, vcc_lo :: v_dual_bitop2_b32 v3, s6, v0 bitop3:0x14
	v_subrev_nc_u32_e32 v4, s11, v1
	s_delay_alu instid0(VALU_DEP_1) | instskip(NEXT) | instid1(VALU_DEP_1)
	v_dual_cndmask_b32 v1, v1, v4 :: v_dual_add_nc_u32 v4, 1, v2
	v_cmp_le_u32_e32 vcc_lo, s11, v1
	s_delay_alu instid0(VALU_DEP_2) | instskip(NEXT) | instid1(VALU_DEP_1)
	v_dual_ashrrev_i32 v3, 31, v3 :: v_dual_cndmask_b32 v1, v2, v4, vcc_lo
	v_xor_b32_e32 v1, v1, v3
	s_delay_alu instid0(VALU_DEP_1) | instskip(SKIP_4) | instid1(VALU_DEP_1)
	v_sub_nc_u32_e32 v1, v1, v3
	global_load_b32 v2, v1, s[8:9] scale_offset
	s_wait_xcnt 0x0
	s_load_b32 s8, s[0:1], 0x28
	v_mul_lo_u32 v1, v1, s6
	v_sub_nc_u32_e32 v1, v0, v1
	s_wait_loadcnt 0x0
	s_wait_kmcnt 0x0
	v_subrev_nc_u32_e32 v2, s8, v2
	s_delay_alu instid0(VALU_DEP_1)
	v_mad_u32 v1, v2, s6, v1
.LBB2_4:
	s_or_b32 exec_lo, exec_lo, s10
	s_delay_alu instid0(SALU_CYCLE_1)
	s_and_b32 vcc_lo, exec_lo, s5
	s_cbranch_vccz .LBB2_7
.LBB2_5:
	s_mul_i32 s4, s6, s4
	s_delay_alu instid0(SALU_CYCLE_1) | instskip(SKIP_2) | instid1(SALU_CYCLE_1)
	v_cmp_gt_i32_e32 vcc_lo, s4, v0
	s_and_not1_b32 s4, s7, exec_lo
	s_and_b32 s5, vcc_lo, exec_lo
	s_or_b32 s7, s4, s5
	s_delay_alu instid0(SALU_CYCLE_1)
	s_and_saveexec_b32 s4, s7
	s_cbranch_execnz .LBB2_8
	s_branch .LBB2_9
.LBB2_6:
                                        ; implicit-def: $vgpr1
	s_cbranch_execnz .LBB2_5
.LBB2_7:
	s_delay_alu instid0(VALU_DEP_1)
	v_mov_b32_e32 v0, v1
	s_and_saveexec_b32 s4, s7
	s_cbranch_execz .LBB2_9
.LBB2_8:
	s_load_b64 s[0:1], s[0:1], 0x18
	s_mov_b32 s4, s3
	s_wait_kmcnt 0x0
	global_load_b64 v[2:3], v0, s[0:1] scale_offset
	s_wait_loadcnt 0x0
	v_pk_mul_f32 v[4:5], s[4:5], v[2:3] op_sel:[0,1] op_sel_hi:[0,0] neg_lo:[0,1]
	s_delay_alu instid0(VALU_DEP_1)
	v_pk_fma_f32 v[2:3], v[2:3], s[2:3], v[4:5] op_sel_hi:[1,0,1]
	global_store_b64 v0, v[2:3], s[0:1] scale_offset
.LBB2_9:
	s_endpgm
	.section	.rodata,"a",@progbits
	.p2align	6, 0x0
	.amdhsa_kernel _ZN9rocsparseL18bsrxmv_scale_arrayILj256Ei21rocsparse_complex_numIfEEEvT0_S3_S3_PKS3_PT1_PKS6_21rocsparse_index_base_
		.amdhsa_group_segment_fixed_size 0
		.amdhsa_private_segment_fixed_size 0
		.amdhsa_kernarg_size 44
		.amdhsa_user_sgpr_count 2
		.amdhsa_user_sgpr_dispatch_ptr 0
		.amdhsa_user_sgpr_queue_ptr 0
		.amdhsa_user_sgpr_kernarg_segment_ptr 1
		.amdhsa_user_sgpr_dispatch_id 0
		.amdhsa_user_sgpr_kernarg_preload_length 0
		.amdhsa_user_sgpr_kernarg_preload_offset 0
		.amdhsa_user_sgpr_private_segment_size 0
		.amdhsa_wavefront_size32 1
		.amdhsa_uses_dynamic_stack 0
		.amdhsa_enable_private_segment 0
		.amdhsa_system_sgpr_workgroup_id_x 1
		.amdhsa_system_sgpr_workgroup_id_y 0
		.amdhsa_system_sgpr_workgroup_id_z 0
		.amdhsa_system_sgpr_workgroup_info 0
		.amdhsa_system_vgpr_workitem_id 0
		.amdhsa_next_free_vgpr 6
		.amdhsa_next_free_sgpr 14
		.amdhsa_named_barrier_count 0
		.amdhsa_reserve_vcc 1
		.amdhsa_float_round_mode_32 0
		.amdhsa_float_round_mode_16_64 0
		.amdhsa_float_denorm_mode_32 3
		.amdhsa_float_denorm_mode_16_64 3
		.amdhsa_fp16_overflow 0
		.amdhsa_memory_ordered 1
		.amdhsa_forward_progress 1
		.amdhsa_inst_pref_size 5
		.amdhsa_round_robin_scheduling 0
		.amdhsa_exception_fp_ieee_invalid_op 0
		.amdhsa_exception_fp_denorm_src 0
		.amdhsa_exception_fp_ieee_div_zero 0
		.amdhsa_exception_fp_ieee_overflow 0
		.amdhsa_exception_fp_ieee_underflow 0
		.amdhsa_exception_fp_ieee_inexact 0
		.amdhsa_exception_int_div_zero 0
	.end_amdhsa_kernel
	.section	.text._ZN9rocsparseL18bsrxmv_scale_arrayILj256Ei21rocsparse_complex_numIfEEEvT0_S3_S3_PKS3_PT1_PKS6_21rocsparse_index_base_,"axG",@progbits,_ZN9rocsparseL18bsrxmv_scale_arrayILj256Ei21rocsparse_complex_numIfEEEvT0_S3_S3_PKS3_PT1_PKS6_21rocsparse_index_base_,comdat
.Lfunc_end2:
	.size	_ZN9rocsparseL18bsrxmv_scale_arrayILj256Ei21rocsparse_complex_numIfEEEvT0_S3_S3_PKS3_PT1_PKS6_21rocsparse_index_base_, .Lfunc_end2-_ZN9rocsparseL18bsrxmv_scale_arrayILj256Ei21rocsparse_complex_numIfEEEvT0_S3_S3_PKS3_PT1_PKS6_21rocsparse_index_base_
                                        ; -- End function
	.set _ZN9rocsparseL18bsrxmv_scale_arrayILj256Ei21rocsparse_complex_numIfEEEvT0_S3_S3_PKS3_PT1_PKS6_21rocsparse_index_base_.num_vgpr, 6
	.set _ZN9rocsparseL18bsrxmv_scale_arrayILj256Ei21rocsparse_complex_numIfEEEvT0_S3_S3_PKS3_PT1_PKS6_21rocsparse_index_base_.num_agpr, 0
	.set _ZN9rocsparseL18bsrxmv_scale_arrayILj256Ei21rocsparse_complex_numIfEEEvT0_S3_S3_PKS3_PT1_PKS6_21rocsparse_index_base_.numbered_sgpr, 14
	.set _ZN9rocsparseL18bsrxmv_scale_arrayILj256Ei21rocsparse_complex_numIfEEEvT0_S3_S3_PKS3_PT1_PKS6_21rocsparse_index_base_.num_named_barrier, 0
	.set _ZN9rocsparseL18bsrxmv_scale_arrayILj256Ei21rocsparse_complex_numIfEEEvT0_S3_S3_PKS3_PT1_PKS6_21rocsparse_index_base_.private_seg_size, 0
	.set _ZN9rocsparseL18bsrxmv_scale_arrayILj256Ei21rocsparse_complex_numIfEEEvT0_S3_S3_PKS3_PT1_PKS6_21rocsparse_index_base_.uses_vcc, 1
	.set _ZN9rocsparseL18bsrxmv_scale_arrayILj256Ei21rocsparse_complex_numIfEEEvT0_S3_S3_PKS3_PT1_PKS6_21rocsparse_index_base_.uses_flat_scratch, 0
	.set _ZN9rocsparseL18bsrxmv_scale_arrayILj256Ei21rocsparse_complex_numIfEEEvT0_S3_S3_PKS3_PT1_PKS6_21rocsparse_index_base_.has_dyn_sized_stack, 0
	.set _ZN9rocsparseL18bsrxmv_scale_arrayILj256Ei21rocsparse_complex_numIfEEEvT0_S3_S3_PKS3_PT1_PKS6_21rocsparse_index_base_.has_recursion, 0
	.set _ZN9rocsparseL18bsrxmv_scale_arrayILj256Ei21rocsparse_complex_numIfEEEvT0_S3_S3_PKS3_PT1_PKS6_21rocsparse_index_base_.has_indirect_call, 0
	.section	.AMDGPU.csdata,"",@progbits
; Kernel info:
; codeLenInByte = 548
; TotalNumSgprs: 16
; NumVgprs: 6
; ScratchSize: 0
; MemoryBound: 0
; FloatMode: 240
; IeeeMode: 1
; LDSByteSize: 0 bytes/workgroup (compile time only)
; SGPRBlocks: 0
; VGPRBlocks: 0
; NumSGPRsForWavesPerEU: 16
; NumVGPRsForWavesPerEU: 6
; NamedBarCnt: 0
; Occupancy: 16
; WaveLimiterHint : 0
; COMPUTE_PGM_RSRC2:SCRATCH_EN: 0
; COMPUTE_PGM_RSRC2:USER_SGPR: 2
; COMPUTE_PGM_RSRC2:TRAP_HANDLER: 0
; COMPUTE_PGM_RSRC2:TGID_X_EN: 1
; COMPUTE_PGM_RSRC2:TGID_Y_EN: 0
; COMPUTE_PGM_RSRC2:TGID_Z_EN: 0
; COMPUTE_PGM_RSRC2:TIDIG_COMP_CNT: 0
	.section	.text._ZN9rocsparseL18bsrxmv_scale_arrayILj256Ei21rocsparse_complex_numIdEEEvT0_S3_S3_PKS3_PT1_PKS6_21rocsparse_index_base_,"axG",@progbits,_ZN9rocsparseL18bsrxmv_scale_arrayILj256Ei21rocsparse_complex_numIdEEEvT0_S3_S3_PKS3_PT1_PKS6_21rocsparse_index_base_,comdat
	.globl	_ZN9rocsparseL18bsrxmv_scale_arrayILj256Ei21rocsparse_complex_numIdEEEvT0_S3_S3_PKS3_PT1_PKS6_21rocsparse_index_base_ ; -- Begin function _ZN9rocsparseL18bsrxmv_scale_arrayILj256Ei21rocsparse_complex_numIdEEEvT0_S3_S3_PKS3_PT1_PKS6_21rocsparse_index_base_
	.p2align	8
	.type	_ZN9rocsparseL18bsrxmv_scale_arrayILj256Ei21rocsparse_complex_numIdEEEvT0_S3_S3_PKS3_PT1_PKS6_21rocsparse_index_base_,@function
_ZN9rocsparseL18bsrxmv_scale_arrayILj256Ei21rocsparse_complex_numIdEEEvT0_S3_S3_PKS3_PT1_PKS6_21rocsparse_index_base_: ; @_ZN9rocsparseL18bsrxmv_scale_arrayILj256Ei21rocsparse_complex_numIdEEEvT0_S3_S3_PKS3_PT1_PKS6_21rocsparse_index_base_
; %bb.0:
	s_load_b64 s[2:3], s[0:1], 0x20
	s_wait_kmcnt 0x0
	s_load_b128 s[4:7], s[2:3], 0x0
	s_wait_kmcnt 0x0
	v_cmp_neq_f64_e64 s2, s[4:5], 1.0
	v_cmp_neq_f64_e64 s3, s[6:7], 0
	s_or_b32 s2, s2, s3
	s_delay_alu instid0(SALU_CYCLE_1)
	s_and_not1_b32 vcc_lo, exec_lo, s2
	s_cbranch_vccnz .LBB3_9
; %bb.1:
	s_clause 0x1
	s_load_b64 s[2:3], s[0:1], 0x10
	s_load_b96 s[8:10], s[0:1], 0x0
	s_bfe_u32 s11, ttmp6, 0x4000c
	s_and_b32 s12, ttmp6, 15
	s_add_co_i32 s11, s11, 1
	s_getreg_b32 s13, hwreg(HW_REG_IB_STS2, 6, 4)
	s_mul_i32 s11, ttmp9, s11
	s_delay_alu instid0(SALU_CYCLE_1) | instskip(SKIP_2) | instid1(SALU_CYCLE_1)
	s_add_co_i32 s12, s12, s11
	s_cmp_eq_u32 s13, 0
	s_cselect_b32 s11, ttmp9, s12
	v_lshl_or_b32 v0, s11, 8, v0
	s_mov_b32 s11, 0
	s_wait_kmcnt 0x0
	s_cmp_lg_u64 s[2:3], 0
	s_cbranch_scc0 .LBB3_6
; %bb.2:
	s_mul_i32 s9, s10, s9
                                        ; implicit-def: $vgpr1
	s_delay_alu instid0(SALU_CYCLE_1) | instskip(SKIP_2) | instid1(SALU_CYCLE_1)
	v_cmp_gt_i32_e32 vcc_lo, s9, v0
	s_mov_b32 s9, 0
	s_and_saveexec_b32 s12, vcc_lo
	s_xor_b32 s12, exec_lo, s12
	s_cbranch_execz .LBB3_4
; %bb.3:
	s_abs_i32 s13, s10
	s_mov_b32 s11, exec_lo
	s_cvt_f32_u32 s14, s13
	s_sub_co_i32 s15, 0, s13
	s_delay_alu instid0(SALU_CYCLE_2) | instskip(SKIP_1) | instid1(TRANS32_DEP_1)
	v_rcp_iflag_f32_e32 v1, s14
	v_nop
	v_readfirstlane_b32 s14, v1
	v_sub_nc_u32_e32 v1, 0, v0
	s_mul_f32 s14, s14, 0x4f7ffffe
	s_delay_alu instid0(VALU_DEP_1) | instskip(NEXT) | instid1(SALU_CYCLE_2)
	v_max_i32_e32 v1, v0, v1
	s_cvt_u32_f32 s14, s14
	s_delay_alu instid0(SALU_CYCLE_3) | instskip(NEXT) | instid1(SALU_CYCLE_1)
	s_mul_i32 s15, s15, s14
	s_mul_hi_u32 s15, s14, s15
	s_delay_alu instid0(SALU_CYCLE_1) | instskip(NEXT) | instid1(SALU_CYCLE_1)
	s_add_co_i32 s14, s14, s15
	v_mul_hi_u32 v2, v1, s14
	s_delay_alu instid0(VALU_DEP_1) | instskip(NEXT) | instid1(VALU_DEP_1)
	v_mul_lo_u32 v3, v2, s13
	v_dual_sub_nc_u32 v1, v1, v3 :: v_dual_add_nc_u32 v3, 1, v2
	s_delay_alu instid0(VALU_DEP_1) | instskip(NEXT) | instid1(VALU_DEP_2)
	v_cmp_le_u32_e32 vcc_lo, s13, v1
	v_dual_cndmask_b32 v2, v2, v3, vcc_lo :: v_dual_bitop2_b32 v3, s10, v0 bitop3:0x14
	v_subrev_nc_u32_e32 v4, s13, v1
	s_delay_alu instid0(VALU_DEP_1) | instskip(NEXT) | instid1(VALU_DEP_1)
	v_dual_cndmask_b32 v1, v1, v4 :: v_dual_add_nc_u32 v4, 1, v2
	v_cmp_le_u32_e32 vcc_lo, s13, v1
	s_delay_alu instid0(VALU_DEP_2) | instskip(NEXT) | instid1(VALU_DEP_1)
	v_dual_ashrrev_i32 v3, 31, v3 :: v_dual_cndmask_b32 v1, v2, v4, vcc_lo
	v_xor_b32_e32 v1, v1, v3
	s_delay_alu instid0(VALU_DEP_1) | instskip(SKIP_4) | instid1(VALU_DEP_1)
	v_sub_nc_u32_e32 v1, v1, v3
	global_load_b32 v2, v1, s[2:3] scale_offset
	s_wait_xcnt 0x0
	s_load_b32 s2, s[0:1], 0x28
	v_mul_lo_u32 v1, v1, s10
	v_sub_nc_u32_e32 v1, v0, v1
	s_wait_loadcnt 0x0
	s_wait_kmcnt 0x0
	v_subrev_nc_u32_e32 v2, s2, v2
	s_delay_alu instid0(VALU_DEP_1)
	v_mad_u32 v1, v2, s10, v1
.LBB3_4:
	s_or_b32 exec_lo, exec_lo, s12
	s_delay_alu instid0(SALU_CYCLE_1)
	s_and_b32 vcc_lo, exec_lo, s9
	s_cbranch_vccz .LBB3_7
.LBB3_5:
	s_mul_i32 s2, s10, s8
	s_delay_alu instid0(SALU_CYCLE_1) | instskip(SKIP_2) | instid1(SALU_CYCLE_1)
	v_cmp_gt_i32_e32 vcc_lo, s2, v0
	s_and_not1_b32 s2, s11, exec_lo
	s_and_b32 s3, vcc_lo, exec_lo
	s_or_b32 s11, s2, s3
	s_delay_alu instid0(SALU_CYCLE_1)
	s_and_saveexec_b32 s2, s11
	s_cbranch_execnz .LBB3_8
	s_branch .LBB3_9
.LBB3_6:
                                        ; implicit-def: $vgpr1
	s_cbranch_execnz .LBB3_5
.LBB3_7:
	s_delay_alu instid0(VALU_DEP_1)
	v_mov_b32_e32 v0, v1
	s_and_saveexec_b32 s2, s11
	s_cbranch_execz .LBB3_9
.LBB3_8:
	s_load_b64 s[0:1], s[0:1], 0x18
	s_wait_kmcnt 0x0
	global_load_b128 v[2:5], v0, s[0:1] scale_offset
	s_wait_loadcnt 0x0
	v_mul_f64_e64 v[6:7], s[6:7], -v[4:5]
	v_mul_f64_e32 v[8:9], s[6:7], v[2:3]
	s_delay_alu instid0(VALU_DEP_2) | instskip(NEXT) | instid1(VALU_DEP_2)
	v_fmac_f64_e32 v[6:7], s[4:5], v[2:3]
	v_fmac_f64_e32 v[8:9], s[4:5], v[4:5]
	global_store_b128 v0, v[6:9], s[0:1] scale_offset
.LBB3_9:
	s_endpgm
	.section	.rodata,"a",@progbits
	.p2align	6, 0x0
	.amdhsa_kernel _ZN9rocsparseL18bsrxmv_scale_arrayILj256Ei21rocsparse_complex_numIdEEEvT0_S3_S3_PKS3_PT1_PKS6_21rocsparse_index_base_
		.amdhsa_group_segment_fixed_size 0
		.amdhsa_private_segment_fixed_size 0
		.amdhsa_kernarg_size 44
		.amdhsa_user_sgpr_count 2
		.amdhsa_user_sgpr_dispatch_ptr 0
		.amdhsa_user_sgpr_queue_ptr 0
		.amdhsa_user_sgpr_kernarg_segment_ptr 1
		.amdhsa_user_sgpr_dispatch_id 0
		.amdhsa_user_sgpr_kernarg_preload_length 0
		.amdhsa_user_sgpr_kernarg_preload_offset 0
		.amdhsa_user_sgpr_private_segment_size 0
		.amdhsa_wavefront_size32 1
		.amdhsa_uses_dynamic_stack 0
		.amdhsa_enable_private_segment 0
		.amdhsa_system_sgpr_workgroup_id_x 1
		.amdhsa_system_sgpr_workgroup_id_y 0
		.amdhsa_system_sgpr_workgroup_id_z 0
		.amdhsa_system_sgpr_workgroup_info 0
		.amdhsa_system_vgpr_workitem_id 0
		.amdhsa_next_free_vgpr 10
		.amdhsa_next_free_sgpr 16
		.amdhsa_named_barrier_count 0
		.amdhsa_reserve_vcc 1
		.amdhsa_float_round_mode_32 0
		.amdhsa_float_round_mode_16_64 0
		.amdhsa_float_denorm_mode_32 3
		.amdhsa_float_denorm_mode_16_64 3
		.amdhsa_fp16_overflow 0
		.amdhsa_memory_ordered 1
		.amdhsa_forward_progress 1
		.amdhsa_inst_pref_size 5
		.amdhsa_round_robin_scheduling 0
		.amdhsa_exception_fp_ieee_invalid_op 0
		.amdhsa_exception_fp_denorm_src 0
		.amdhsa_exception_fp_ieee_div_zero 0
		.amdhsa_exception_fp_ieee_overflow 0
		.amdhsa_exception_fp_ieee_underflow 0
		.amdhsa_exception_fp_ieee_inexact 0
		.amdhsa_exception_int_div_zero 0
	.end_amdhsa_kernel
	.section	.text._ZN9rocsparseL18bsrxmv_scale_arrayILj256Ei21rocsparse_complex_numIdEEEvT0_S3_S3_PKS3_PT1_PKS6_21rocsparse_index_base_,"axG",@progbits,_ZN9rocsparseL18bsrxmv_scale_arrayILj256Ei21rocsparse_complex_numIdEEEvT0_S3_S3_PKS3_PT1_PKS6_21rocsparse_index_base_,comdat
.Lfunc_end3:
	.size	_ZN9rocsparseL18bsrxmv_scale_arrayILj256Ei21rocsparse_complex_numIdEEEvT0_S3_S3_PKS3_PT1_PKS6_21rocsparse_index_base_, .Lfunc_end3-_ZN9rocsparseL18bsrxmv_scale_arrayILj256Ei21rocsparse_complex_numIdEEEvT0_S3_S3_PKS3_PT1_PKS6_21rocsparse_index_base_
                                        ; -- End function
	.set _ZN9rocsparseL18bsrxmv_scale_arrayILj256Ei21rocsparse_complex_numIdEEEvT0_S3_S3_PKS3_PT1_PKS6_21rocsparse_index_base_.num_vgpr, 10
	.set _ZN9rocsparseL18bsrxmv_scale_arrayILj256Ei21rocsparse_complex_numIdEEEvT0_S3_S3_PKS3_PT1_PKS6_21rocsparse_index_base_.num_agpr, 0
	.set _ZN9rocsparseL18bsrxmv_scale_arrayILj256Ei21rocsparse_complex_numIdEEEvT0_S3_S3_PKS3_PT1_PKS6_21rocsparse_index_base_.numbered_sgpr, 16
	.set _ZN9rocsparseL18bsrxmv_scale_arrayILj256Ei21rocsparse_complex_numIdEEEvT0_S3_S3_PKS3_PT1_PKS6_21rocsparse_index_base_.num_named_barrier, 0
	.set _ZN9rocsparseL18bsrxmv_scale_arrayILj256Ei21rocsparse_complex_numIdEEEvT0_S3_S3_PKS3_PT1_PKS6_21rocsparse_index_base_.private_seg_size, 0
	.set _ZN9rocsparseL18bsrxmv_scale_arrayILj256Ei21rocsparse_complex_numIdEEEvT0_S3_S3_PKS3_PT1_PKS6_21rocsparse_index_base_.uses_vcc, 1
	.set _ZN9rocsparseL18bsrxmv_scale_arrayILj256Ei21rocsparse_complex_numIdEEEvT0_S3_S3_PKS3_PT1_PKS6_21rocsparse_index_base_.uses_flat_scratch, 0
	.set _ZN9rocsparseL18bsrxmv_scale_arrayILj256Ei21rocsparse_complex_numIdEEEvT0_S3_S3_PKS3_PT1_PKS6_21rocsparse_index_base_.has_dyn_sized_stack, 0
	.set _ZN9rocsparseL18bsrxmv_scale_arrayILj256Ei21rocsparse_complex_numIdEEEvT0_S3_S3_PKS3_PT1_PKS6_21rocsparse_index_base_.has_recursion, 0
	.set _ZN9rocsparseL18bsrxmv_scale_arrayILj256Ei21rocsparse_complex_numIdEEEvT0_S3_S3_PKS3_PT1_PKS6_21rocsparse_index_base_.has_indirect_call, 0
	.section	.AMDGPU.csdata,"",@progbits
; Kernel info:
; codeLenInByte = 548
; TotalNumSgprs: 18
; NumVgprs: 10
; ScratchSize: 0
; MemoryBound: 0
; FloatMode: 240
; IeeeMode: 1
; LDSByteSize: 0 bytes/workgroup (compile time only)
; SGPRBlocks: 0
; VGPRBlocks: 0
; NumSGPRsForWavesPerEU: 18
; NumVGPRsForWavesPerEU: 10
; NamedBarCnt: 0
; Occupancy: 16
; WaveLimiterHint : 0
; COMPUTE_PGM_RSRC2:SCRATCH_EN: 0
; COMPUTE_PGM_RSRC2:USER_SGPR: 2
; COMPUTE_PGM_RSRC2:TRAP_HANDLER: 0
; COMPUTE_PGM_RSRC2:TGID_X_EN: 1
; COMPUTE_PGM_RSRC2:TGID_Y_EN: 0
; COMPUTE_PGM_RSRC2:TGID_Z_EN: 0
; COMPUTE_PGM_RSRC2:TIDIG_COMP_CNT: 0
	.section	.AMDGPU.gpr_maximums,"",@progbits
	.set amdgpu.max_num_vgpr, 0
	.set amdgpu.max_num_agpr, 0
	.set amdgpu.max_num_sgpr, 0
	.section	.AMDGPU.csdata,"",@progbits
	.type	__hip_cuid_999e8b3d97b58f57,@object ; @__hip_cuid_999e8b3d97b58f57
	.section	.bss,"aw",@nobits
	.globl	__hip_cuid_999e8b3d97b58f57
__hip_cuid_999e8b3d97b58f57:
	.byte	0                               ; 0x0
	.size	__hip_cuid_999e8b3d97b58f57, 1

	.ident	"AMD clang version 22.0.0git (https://github.com/RadeonOpenCompute/llvm-project roc-7.2.4 26084 f58b06dce1f9c15707c5f808fd002e18c2accf7e)"
	.section	".note.GNU-stack","",@progbits
	.addrsig
	.addrsig_sym __hip_cuid_999e8b3d97b58f57
	.amdgpu_metadata
---
amdhsa.kernels:
  - .args:
      - .offset:         0
        .size:           4
        .value_kind:     by_value
      - .offset:         4
        .size:           4
        .value_kind:     by_value
      - .offset:         8
        .size:           4
        .value_kind:     by_value
      - .actual_access:  read_only
        .address_space:  global
        .offset:         16
        .size:           8
        .value_kind:     global_buffer
      - .address_space:  global
        .offset:         24
        .size:           8
        .value_kind:     global_buffer
      - .address_space:  global
        .offset:         32
        .size:           8
        .value_kind:     global_buffer
      - .offset:         40
        .size:           4
        .value_kind:     by_value
    .group_segment_fixed_size: 0
    .kernarg_segment_align: 8
    .kernarg_segment_size: 44
    .language:       OpenCL C
    .language_version:
      - 2
      - 0
    .max_flat_workgroup_size: 256
    .name:           _ZN9rocsparseL18bsrxmv_scale_arrayILj256EifEEvT0_S1_S1_PKS1_PT1_PKS4_21rocsparse_index_base_
    .private_segment_fixed_size: 0
    .sgpr_count:     15
    .sgpr_spill_count: 0
    .symbol:         _ZN9rocsparseL18bsrxmv_scale_arrayILj256EifEEvT0_S1_S1_PKS1_PT1_PKS4_21rocsparse_index_base_.kd
    .uniform_work_group_size: 1
    .uses_dynamic_stack: false
    .vgpr_count:     5
    .vgpr_spill_count: 0
    .wavefront_size: 32
  - .args:
      - .offset:         0
        .size:           4
        .value_kind:     by_value
      - .offset:         4
        .size:           4
        .value_kind:     by_value
      - .offset:         8
        .size:           4
        .value_kind:     by_value
      - .actual_access:  read_only
        .address_space:  global
        .offset:         16
        .size:           8
        .value_kind:     global_buffer
      - .address_space:  global
        .offset:         24
        .size:           8
        .value_kind:     global_buffer
      - .address_space:  global
        .offset:         32
        .size:           8
        .value_kind:     global_buffer
      - .offset:         40
        .size:           4
        .value_kind:     by_value
    .group_segment_fixed_size: 0
    .kernarg_segment_align: 8
    .kernarg_segment_size: 44
    .language:       OpenCL C
    .language_version:
      - 2
      - 0
    .max_flat_workgroup_size: 256
    .name:           _ZN9rocsparseL18bsrxmv_scale_arrayILj256EidEEvT0_S1_S1_PKS1_PT1_PKS4_21rocsparse_index_base_
    .private_segment_fixed_size: 0
    .sgpr_count:     16
    .sgpr_spill_count: 0
    .symbol:         _ZN9rocsparseL18bsrxmv_scale_arrayILj256EidEEvT0_S1_S1_PKS1_PT1_PKS4_21rocsparse_index_base_.kd
    .uniform_work_group_size: 1
    .uses_dynamic_stack: false
    .vgpr_count:     5
    .vgpr_spill_count: 0
    .wavefront_size: 32
  - .args:
      - .offset:         0
        .size:           4
        .value_kind:     by_value
      - .offset:         4
        .size:           4
        .value_kind:     by_value
      - .offset:         8
        .size:           4
        .value_kind:     by_value
      - .actual_access:  read_only
        .address_space:  global
        .offset:         16
        .size:           8
        .value_kind:     global_buffer
      - .address_space:  global
        .offset:         24
        .size:           8
        .value_kind:     global_buffer
      - .address_space:  global
        .offset:         32
        .size:           8
        .value_kind:     global_buffer
      - .offset:         40
        .size:           4
        .value_kind:     by_value
    .group_segment_fixed_size: 0
    .kernarg_segment_align: 8
    .kernarg_segment_size: 44
    .language:       OpenCL C
    .language_version:
      - 2
      - 0
    .max_flat_workgroup_size: 256
    .name:           _ZN9rocsparseL18bsrxmv_scale_arrayILj256Ei21rocsparse_complex_numIfEEEvT0_S3_S3_PKS3_PT1_PKS6_21rocsparse_index_base_
    .private_segment_fixed_size: 0
    .sgpr_count:     16
    .sgpr_spill_count: 0
    .symbol:         _ZN9rocsparseL18bsrxmv_scale_arrayILj256Ei21rocsparse_complex_numIfEEEvT0_S3_S3_PKS3_PT1_PKS6_21rocsparse_index_base_.kd
    .uniform_work_group_size: 1
    .uses_dynamic_stack: false
    .vgpr_count:     6
    .vgpr_spill_count: 0
    .wavefront_size: 32
  - .args:
      - .offset:         0
        .size:           4
        .value_kind:     by_value
      - .offset:         4
        .size:           4
        .value_kind:     by_value
      - .offset:         8
        .size:           4
        .value_kind:     by_value
      - .actual_access:  read_only
        .address_space:  global
        .offset:         16
        .size:           8
        .value_kind:     global_buffer
      - .address_space:  global
        .offset:         24
        .size:           8
        .value_kind:     global_buffer
      - .address_space:  global
        .offset:         32
        .size:           8
        .value_kind:     global_buffer
      - .offset:         40
        .size:           4
        .value_kind:     by_value
    .group_segment_fixed_size: 0
    .kernarg_segment_align: 8
    .kernarg_segment_size: 44
    .language:       OpenCL C
    .language_version:
      - 2
      - 0
    .max_flat_workgroup_size: 256
    .name:           _ZN9rocsparseL18bsrxmv_scale_arrayILj256Ei21rocsparse_complex_numIdEEEvT0_S3_S3_PKS3_PT1_PKS6_21rocsparse_index_base_
    .private_segment_fixed_size: 0
    .sgpr_count:     18
    .sgpr_spill_count: 0
    .symbol:         _ZN9rocsparseL18bsrxmv_scale_arrayILj256Ei21rocsparse_complex_numIdEEEvT0_S3_S3_PKS3_PT1_PKS6_21rocsparse_index_base_.kd
    .uniform_work_group_size: 1
    .uses_dynamic_stack: false
    .vgpr_count:     10
    .vgpr_spill_count: 0
    .wavefront_size: 32
amdhsa.target:   amdgcn-amd-amdhsa--gfx1250
amdhsa.version:
  - 1
  - 2
...

	.end_amdgpu_metadata
